;; amdgpu-corpus repo=ROCm/rocFFT kind=compiled arch=gfx906 opt=O3
	.text
	.amdgcn_target "amdgcn-amd-amdhsa--gfx906"
	.amdhsa_code_object_version 6
	.protected	bluestein_single_fwd_len5_dim1_dp_op_CI_CI ; -- Begin function bluestein_single_fwd_len5_dim1_dp_op_CI_CI
	.globl	bluestein_single_fwd_len5_dim1_dp_op_CI_CI
	.p2align	8
	.type	bluestein_single_fwd_len5_dim1_dp_op_CI_CI,@function
bluestein_single_fwd_len5_dim1_dp_op_CI_CI: ; @bluestein_single_fwd_len5_dim1_dp_op_CI_CI
; %bb.0:
	s_load_dwordx4 s[12:15], s[4:5], 0x28
	v_lshl_or_b32 v1, s6, 7, v0
	v_mov_b32_e32 v2, 0
	s_waitcnt lgkmcnt(0)
	v_cmp_gt_u64_e32 vcc, s[12:13], v[1:2]
	s_and_saveexec_b64 s[0:1], vcc
	s_cbranch_execz .LBB0_2
; %bb.1:
	s_load_dwordx4 s[0:3], s[4:5], 0x18
	s_load_dwordx2 s[24:25], s[4:5], 0x0
	v_mov_b32_e32 v5, s15
	v_mul_u32_u24_e32 v0, 0x50, v0
	s_mov_b32 s52, 0x134454ff
	s_waitcnt lgkmcnt(0)
	s_load_dwordx4 s[8:11], s[0:1], 0x0
	s_mov_b32 s53, 0x3fee6f0e
	s_mov_b32 s57, 0xbfee6f0e
	;; [unrolled: 1-line block ×4, first 2 shown]
	s_waitcnt lgkmcnt(0)
	v_mad_u64_u32 v[2:3], s[0:1], s10, v1, 0
	s_lshl_b64 s[0:1], s[8:9], 4
	s_mov_b32 s35, 0x3fe2cf23
	v_mad_u64_u32 v[3:4], s[6:7], s11, v1, v[3:4]
	v_mov_b32_e32 v4, s1
	s_lshl_b64 s[6:7], s[8:9], 5
	v_lshlrev_b64 v[2:3], 4, v[2:3]
	v_mov_b32_e32 v12, s7
	v_add_co_u32_e32 v14, vcc, s14, v2
	v_addc_co_u32_e32 v15, vcc, v5, v3, vcc
	v_add_co_u32_e32 v10, vcc, s0, v14
	v_mad_u64_u32 v[18:19], s[0:1], s8, 48, v[14:15]
	v_addc_co_u32_e32 v11, vcc, v15, v4, vcc
	global_load_dwordx4 v[2:5], v[14:15], off
	global_load_dwordx4 v[6:9], v[10:11], off
	v_mov_b32_e32 v16, v19
	v_add_co_u32_e32 v10, vcc, s6, v14
	v_mad_u64_u32 v[19:20], s[0:1], s9, 48, v[16:17]
	v_addc_co_u32_e32 v11, vcc, v15, v12, vcc
	s_lshl_b64 s[0:1], s[8:9], 6
	global_load_dwordx4 v[10:13], v[10:11], off
	v_mov_b32_e32 v16, s1
	v_add_co_u32_e32 v14, vcc, s0, v14
	v_addc_co_u32_e32 v15, vcc, v15, v16, vcc
	global_load_dwordx4 v[14:17], v[14:15], off
	s_nop 0
	global_load_dwordx4 v[18:21], v[18:19], off
	s_load_dwordx16 s[36:51], s[24:25], 0x0
	s_load_dwordx16 s[8:23], s[24:25], 0x40
	s_mov_b32 s55, 0xbfe2cf23
	s_load_dwordx4 s[0:3], s[2:3], 0x0
	s_mov_b32 s54, s34
	s_mov_b32 s6, 0x372fe950
	;; [unrolled: 1-line block ×3, first 2 shown]
	s_load_dwordx2 s[4:5], s[4:5], 0x38
	s_waitcnt vmcnt(4) lgkmcnt(0)
	v_mul_f64 v[22:23], v[4:5], s[38:39]
	v_mul_f64 v[24:25], v[2:3], s[38:39]
	s_waitcnt vmcnt(3)
	v_mul_f64 v[26:27], v[8:9], s[42:43]
	v_mul_f64 v[28:29], v[6:7], s[42:43]
	v_fma_f64 v[2:3], v[2:3], s[36:37], v[22:23]
	v_fma_f64 v[4:5], v[4:5], s[36:37], -v[24:25]
	s_waitcnt vmcnt(2)
	v_mul_f64 v[30:31], v[12:13], s[46:47]
	v_mul_f64 v[32:33], v[10:11], s[46:47]
	v_fma_f64 v[6:7], v[6:7], s[40:41], v[26:27]
	v_fma_f64 v[8:9], v[8:9], s[40:41], -v[28:29]
	s_waitcnt vmcnt(1)
	v_mul_f64 v[34:35], v[16:17], s[10:11]
	v_mul_f64 v[36:37], v[14:15], s[10:11]
	s_waitcnt vmcnt(0)
	v_mul_f64 v[22:23], v[20:21], s[50:51]
	v_mul_f64 v[24:25], v[18:19], s[50:51]
	v_fma_f64 v[10:11], v[10:11], s[44:45], v[30:31]
	v_fma_f64 v[12:13], v[12:13], s[44:45], -v[32:33]
	v_fma_f64 v[14:15], v[14:15], s[8:9], v[34:35]
	v_fma_f64 v[16:17], v[16:17], s[8:9], -v[36:37]
	;; [unrolled: 2-line block ×3, first 2 shown]
	ds_write_b128 v0, v[2:5]
	ds_write_b128 v0, v[6:9] offset:16
	ds_write_b128 v0, v[10:13] offset:32
	;; [unrolled: 1-line block ×4, first 2 shown]
	s_waitcnt lgkmcnt(0)
	s_barrier
	ds_read_b128 v[2:5], v0
	ds_read_b128 v[6:9], v0 offset:16
	ds_read_b128 v[10:13], v0 offset:32
	;; [unrolled: 1-line block ×4, first 2 shown]
	s_waitcnt lgkmcnt(3)
	v_add_f64 v[22:23], v[2:3], v[6:7]
	s_waitcnt lgkmcnt(2)
	v_add_f64 v[30:31], v[6:7], -v[10:11]
	s_waitcnt lgkmcnt(1)
	v_add_f64 v[24:25], v[10:11], v[14:15]
	s_waitcnt lgkmcnt(0)
	v_add_f64 v[32:33], v[18:19], -v[14:15]
	v_add_f64 v[40:41], v[4:5], v[8:9]
	v_add_f64 v[42:43], v[12:13], v[16:17]
	;; [unrolled: 1-line block ×4, first 2 shown]
	v_add_f64 v[26:27], v[8:9], -v[20:21]
	v_add_f64 v[28:29], v[12:13], -v[16:17]
	;; [unrolled: 1-line block ×9, first 2 shown]
	v_add_f64 v[10:11], v[22:23], v[10:11]
	v_fma_f64 v[22:23], v[24:25], -0.5, v[2:3]
	v_add_f64 v[24:25], v[30:31], v[32:33]
	v_add_f64 v[12:13], v[40:41], v[12:13]
	v_fma_f64 v[32:33], v[42:43], -0.5, v[4:5]
	v_fma_f64 v[2:3], v[34:35], -0.5, v[2:3]
	;; [unrolled: 1-line block ×3, first 2 shown]
	v_add_f64 v[48:49], v[20:21], -v[16:17]
	v_add_f64 v[30:31], v[36:37], v[38:39]
	v_add_f64 v[36:37], v[8:9], v[52:53]
	;; [unrolled: 1-line block ×3, first 2 shown]
	v_fma_f64 v[10:11], v[26:27], s[52:53], v[22:23]
	v_add_f64 v[12:13], v[12:13], v[16:17]
	v_fma_f64 v[16:17], v[6:7], s[56:57], v[32:33]
	v_fma_f64 v[14:15], v[26:27], s[56:57], v[22:23]
	;; [unrolled: 1-line block ×7, first 2 shown]
	v_add_f64 v[34:35], v[46:47], v[48:49]
	v_add_f64 v[2:3], v[8:9], v[18:19]
	v_fma_f64 v[8:9], v[28:29], s[34:35], v[10:11]
	v_add_f64 v[4:5], v[12:13], v[20:21]
	v_fma_f64 v[12:13], v[44:45], s[54:55], v[16:17]
	v_fma_f64 v[10:11], v[28:29], s[54:55], v[14:15]
	;; [unrolled: 1-line block ×15, first 2 shown]
	ds_write_b128 v0, v[2:5]
	ds_write_b128 v0, v[6:9] offset:16
	ds_write_b128 v0, v[14:17] offset:32
	;; [unrolled: 1-line block ×4, first 2 shown]
	s_waitcnt lgkmcnt(0)
	s_barrier
	ds_read_b128 v[2:5], v0
	ds_read_b128 v[6:9], v0 offset:16
	ds_read_b128 v[10:13], v0 offset:32
	ds_read_b128 v[14:17], v0 offset:48
	s_load_dwordx8 s[24:31], s[24:25], 0x80
	ds_read_b128 v[18:21], v0 offset:64
	s_waitcnt lgkmcnt(0)
	v_mul_f64 v[22:23], v[4:5], s[14:15]
	v_mul_f64 v[24:25], v[2:3], s[14:15]
	;; [unrolled: 1-line block ×10, first 2 shown]
	v_fma_f64 v[2:3], v[2:3], s[12:13], -v[22:23]
	v_fma_f64 v[4:5], v[4:5], s[12:13], v[24:25]
	v_fma_f64 v[6:7], v[6:7], s[16:17], -v[26:27]
	v_fma_f64 v[8:9], v[8:9], s[16:17], v[28:29]
	;; [unrolled: 2-line block ×5, first 2 shown]
	ds_write_b128 v0, v[2:5]
	ds_write_b128 v0, v[6:9] offset:16
	ds_write_b128 v0, v[10:13] offset:32
	;; [unrolled: 1-line block ×4, first 2 shown]
	s_waitcnt lgkmcnt(0)
	s_barrier
	ds_read_b128 v[2:5], v0
	ds_read_b128 v[6:9], v0 offset:16
	ds_read_b128 v[10:13], v0 offset:32
	;; [unrolled: 1-line block ×4, first 2 shown]
	s_waitcnt lgkmcnt(3)
	v_add_f64 v[22:23], v[2:3], v[6:7]
	s_waitcnt lgkmcnt(2)
	v_add_f64 v[30:31], v[6:7], -v[10:11]
	s_waitcnt lgkmcnt(1)
	v_add_f64 v[24:25], v[10:11], v[14:15]
	s_waitcnt lgkmcnt(0)
	v_add_f64 v[34:35], v[6:7], v[18:19]
	v_add_f64 v[42:43], v[12:13], v[16:17]
	v_add_f64 v[26:27], v[8:9], -v[20:21]
	v_add_f64 v[32:33], v[18:19], -v[14:15]
	;; [unrolled: 1-line block ×4, first 2 shown]
	v_add_f64 v[50:51], v[8:9], v[20:21]
	v_fma_f64 v[6:7], v[24:25], -0.5, v[2:3]
	v_add_f64 v[46:47], v[10:11], -v[14:15]
	v_add_f64 v[10:11], v[22:23], v[10:11]
	v_add_f64 v[40:41], v[4:5], v[8:9]
	v_add_f64 v[38:39], v[14:15], -v[18:19]
	v_fma_f64 v[2:3], v[34:35], -0.5, v[2:3]
	v_fma_f64 v[34:35], v[42:43], -0.5, v[4:5]
	v_add_f64 v[28:29], v[12:13], -v[16:17]
	v_add_f64 v[22:23], v[30:31], v[32:33]
	v_fma_f64 v[30:31], v[26:27], s[56:57], v[6:7]
	v_fma_f64 v[4:5], v[50:51], -0.5, v[4:5]
	v_add_f64 v[10:11], v[10:11], v[14:15]
	v_add_f64 v[48:49], v[8:9], -v[12:13]
	v_add_f64 v[8:9], v[12:13], -v[8:9]
	v_add_f64 v[12:13], v[40:41], v[12:13]
	v_add_f64 v[24:25], v[20:21], -v[16:17]
	v_add_f64 v[32:33], v[36:37], v[38:39]
	v_fma_f64 v[38:39], v[44:45], s[52:53], v[34:35]
	v_add_f64 v[52:53], v[16:17], -v[20:21]
	v_fma_f64 v[6:7], v[26:27], s[52:53], v[6:7]
	v_fma_f64 v[14:15], v[28:29], s[52:53], v[2:3]
	;; [unrolled: 1-line block ×6, first 2 shown]
	v_add_f64 v[2:3], v[10:11], v[18:19]
	v_fma_f64 v[18:19], v[44:45], s[56:57], v[34:35]
	v_add_f64 v[12:13], v[12:13], v[16:17]
	v_fma_f64 v[16:17], v[46:47], s[34:35], v[38:39]
	;; [unrolled: 2-line block ×3, first 2 shown]
	v_fma_f64 v[14:15], v[26:27], s[54:55], v[14:15]
	v_fma_f64 v[6:7], v[22:23], s[6:7], v[30:31]
	;; [unrolled: 1-line block ×3, first 2 shown]
	v_add_f64 v[30:31], v[8:9], v[52:53]
	v_fma_f64 v[26:27], v[26:27], s[34:35], v[36:37]
	v_fma_f64 v[34:35], v[44:45], s[54:55], v[4:5]
	v_fma_f64 v[36:37], v[46:47], s[54:55], v[18:19]
	v_add_f64 v[4:5], v[12:13], v[20:21]
	v_fma_f64 v[8:9], v[24:25], s[6:7], v[16:17]
	v_fma_f64 v[14:15], v[32:33], s[6:7], v[14:15]
	;; [unrolled: 1-line block ×7, first 2 shown]
	ds_write_b128 v0, v[2:5]
	ds_write_b128 v0, v[6:9] offset:16
	ds_write_b128 v0, v[14:17] offset:32
	;; [unrolled: 1-line block ×4, first 2 shown]
	s_waitcnt lgkmcnt(0)
	s_barrier
	ds_read_b128 v[2:5], v0
	ds_read_b128 v[6:9], v0 offset:16
	v_mad_u64_u32 v[22:23], s[6:7], s2, v1, 0
	v_mov_b32_e32 v26, s5
	s_waitcnt lgkmcnt(1)
	v_mul_f64 v[11:12], s[38:39], v[4:5]
	v_mul_f64 v[13:14], s[38:39], v[2:3]
	v_mov_b32_e32 v10, v23
	s_waitcnt lgkmcnt(0)
	v_mul_f64 v[19:20], s[42:43], v[8:9]
	v_mul_f64 v[24:25], s[42:43], v[6:7]
	v_mad_u64_u32 v[15:16], s[2:3], s3, v1, v[10:11]
	v_fma_f64 v[17:18], s[36:37], v[4:5], -v[13:14]
	v_fma_f64 v[5:6], s[40:41], v[6:7], v[19:20]
	v_mov_b32_e32 v23, v15
	v_fma_f64 v[15:16], s[36:37], v[2:3], v[11:12]
	v_fma_f64 v[7:8], s[40:41], v[8:9], -v[24:25]
	ds_read_b128 v[1:4], v0 offset:32
	ds_read_b128 v[10:13], v0 offset:48
	s_mov_b32 s2, 0x9999999a
	s_mov_b32 s3, 0x3fc99999
	v_lshlrev_b64 v[21:22], 4, v[22:23]
	v_mul_f64 v[5:6], v[5:6], s[2:3]
	v_add_co_u32_e32 v20, vcc, s4, v21
	v_mul_f64 v[14:15], v[15:16], s[2:3]
	v_mul_f64 v[16:17], v[17:18], s[2:3]
	s_waitcnt lgkmcnt(1)
	v_mul_f64 v[18:19], s[46:47], v[3:4]
	v_mul_f64 v[7:8], v[7:8], s[2:3]
	v_addc_co_u32_e32 v21, vcc, v26, v22, vcc
	v_mul_f64 v[23:24], s[46:47], v[1:2]
	s_lshl_b64 s[4:5], s[0:1], 4
	v_mov_b32_e32 v9, s5
	global_store_dwordx4 v[20:21], v[14:17], off
	v_fma_f64 v[1:2], s[44:45], v[1:2], v[18:19]
	s_waitcnt lgkmcnt(0)
	v_mul_f64 v[14:15], s[50:51], v[12:13]
	v_mul_f64 v[16:17], s[50:51], v[10:11]
	v_add_co_u32_e32 v18, vcc, s4, v20
	v_addc_co_u32_e32 v19, vcc, v21, v9, vcc
	global_store_dwordx4 v[18:19], v[5:8], off
	ds_read_b128 v[5:8], v0 offset:64
	v_fma_f64 v[3:4], s[44:45], v[3:4], -v[23:24]
	v_fma_f64 v[9:10], s[48:49], v[10:11], v[14:15]
	v_fma_f64 v[11:12], s[48:49], v[12:13], -v[16:17]
	v_mul_f64 v[1:2], v[1:2], s[2:3]
	s_waitcnt lgkmcnt(0)
	v_mul_f64 v[15:16], s[10:11], v[7:8]
	v_mul_f64 v[17:18], s[10:11], v[5:6]
	v_mad_u64_u32 v[13:14], s[6:7], s0, 48, v[20:21]
	v_mul_f64 v[3:4], v[3:4], s[2:3]
	s_lshl_b64 s[4:5], s[0:1], 5
	v_mov_b32_e32 v19, s5
	v_mov_b32_e32 v0, v14
	v_fma_f64 v[5:6], s[8:9], v[5:6], v[15:16]
	v_fma_f64 v[7:8], s[8:9], v[7:8], -v[17:18]
	v_add_co_u32_e32 v14, vcc, s4, v20
	v_addc_co_u32_e32 v15, vcc, v21, v19, vcc
	v_mul_f64 v[9:10], v[9:10], s[2:3]
	v_mul_f64 v[11:12], v[11:12], s[2:3]
	v_mad_u64_u32 v[22:23], s[6:7], s1, 48, v[0:1]
	global_store_dwordx4 v[14:15], v[1:4], off
	s_lshl_b64 s[0:1], s[0:1], 6
	v_mul_f64 v[0:1], v[5:6], s[2:3]
	v_mul_f64 v[2:3], v[7:8], s[2:3]
	v_mov_b32_e32 v5, s1
	v_add_co_u32_e32 v4, vcc, s0, v20
	v_mov_b32_e32 v14, v22
	v_addc_co_u32_e32 v5, vcc, v21, v5, vcc
	global_store_dwordx4 v[13:14], v[9:12], off
	global_store_dwordx4 v[4:5], v[0:3], off
.LBB0_2:
	s_endpgm
	.section	.rodata,"a",@progbits
	.p2align	6, 0x0
	.amdhsa_kernel bluestein_single_fwd_len5_dim1_dp_op_CI_CI
		.amdhsa_group_segment_fixed_size 10240
		.amdhsa_private_segment_fixed_size 0
		.amdhsa_kernarg_size 104
		.amdhsa_user_sgpr_count 6
		.amdhsa_user_sgpr_private_segment_buffer 1
		.amdhsa_user_sgpr_dispatch_ptr 0
		.amdhsa_user_sgpr_queue_ptr 0
		.amdhsa_user_sgpr_kernarg_segment_ptr 1
		.amdhsa_user_sgpr_dispatch_id 0
		.amdhsa_user_sgpr_flat_scratch_init 0
		.amdhsa_user_sgpr_private_segment_size 0
		.amdhsa_uses_dynamic_stack 0
		.amdhsa_system_sgpr_private_segment_wavefront_offset 0
		.amdhsa_system_sgpr_workgroup_id_x 1
		.amdhsa_system_sgpr_workgroup_id_y 0
		.amdhsa_system_sgpr_workgroup_id_z 0
		.amdhsa_system_sgpr_workgroup_info 0
		.amdhsa_system_vgpr_workitem_id 0
		.amdhsa_next_free_vgpr 54
		.amdhsa_next_free_sgpr 58
		.amdhsa_reserve_vcc 1
		.amdhsa_reserve_flat_scratch 0
		.amdhsa_float_round_mode_32 0
		.amdhsa_float_round_mode_16_64 0
		.amdhsa_float_denorm_mode_32 3
		.amdhsa_float_denorm_mode_16_64 3
		.amdhsa_dx10_clamp 1
		.amdhsa_ieee_mode 1
		.amdhsa_fp16_overflow 0
		.amdhsa_exception_fp_ieee_invalid_op 0
		.amdhsa_exception_fp_denorm_src 0
		.amdhsa_exception_fp_ieee_div_zero 0
		.amdhsa_exception_fp_ieee_overflow 0
		.amdhsa_exception_fp_ieee_underflow 0
		.amdhsa_exception_fp_ieee_inexact 0
		.amdhsa_exception_int_div_zero 0
	.end_amdhsa_kernel
	.text
.Lfunc_end0:
	.size	bluestein_single_fwd_len5_dim1_dp_op_CI_CI, .Lfunc_end0-bluestein_single_fwd_len5_dim1_dp_op_CI_CI
                                        ; -- End function
	.section	.AMDGPU.csdata,"",@progbits
; Kernel info:
; codeLenInByte = 2396
; NumSgprs: 62
; NumVgprs: 54
; ScratchSize: 0
; MemoryBound: 0
; FloatMode: 240
; IeeeMode: 1
; LDSByteSize: 10240 bytes/workgroup (compile time only)
; SGPRBlocks: 7
; VGPRBlocks: 13
; NumSGPRsForWavesPerEU: 62
; NumVGPRsForWavesPerEU: 54
; Occupancy: 3
; WaveLimiterHint : 1
; COMPUTE_PGM_RSRC2:SCRATCH_EN: 0
; COMPUTE_PGM_RSRC2:USER_SGPR: 6
; COMPUTE_PGM_RSRC2:TRAP_HANDLER: 0
; COMPUTE_PGM_RSRC2:TGID_X_EN: 1
; COMPUTE_PGM_RSRC2:TGID_Y_EN: 0
; COMPUTE_PGM_RSRC2:TGID_Z_EN: 0
; COMPUTE_PGM_RSRC2:TIDIG_COMP_CNT: 0
	.type	__hip_cuid_a3148b748a64da39,@object ; @__hip_cuid_a3148b748a64da39
	.section	.bss,"aw",@nobits
	.globl	__hip_cuid_a3148b748a64da39
__hip_cuid_a3148b748a64da39:
	.byte	0                               ; 0x0
	.size	__hip_cuid_a3148b748a64da39, 1

	.ident	"AMD clang version 19.0.0git (https://github.com/RadeonOpenCompute/llvm-project roc-6.4.0 25133 c7fe45cf4b819c5991fe208aaa96edf142730f1d)"
	.section	".note.GNU-stack","",@progbits
	.addrsig
	.addrsig_sym __hip_cuid_a3148b748a64da39
	.amdgpu_metadata
---
amdhsa.kernels:
  - .args:
      - .actual_access:  read_only
        .address_space:  global
        .offset:         0
        .size:           8
        .value_kind:     global_buffer
      - .actual_access:  read_only
        .address_space:  global
        .offset:         8
        .size:           8
        .value_kind:     global_buffer
      - .actual_access:  read_only
        .address_space:  global
        .offset:         16
        .size:           8
        .value_kind:     global_buffer
      - .actual_access:  read_only
        .address_space:  global
        .offset:         24
        .size:           8
        .value_kind:     global_buffer
      - .actual_access:  read_only
        .address_space:  global
        .offset:         32
        .size:           8
        .value_kind:     global_buffer
      - .offset:         40
        .size:           8
        .value_kind:     by_value
      - .address_space:  global
        .offset:         48
        .size:           8
        .value_kind:     global_buffer
      - .address_space:  global
        .offset:         56
        .size:           8
        .value_kind:     global_buffer
      - .address_space:  global
        .offset:         64
        .size:           8
        .value_kind:     global_buffer
      - .address_space:  global
        .offset:         72
        .size:           8
        .value_kind:     global_buffer
      - .offset:         80
        .size:           4
        .value_kind:     by_value
      - .address_space:  global
        .offset:         88
        .size:           8
        .value_kind:     global_buffer
      - .address_space:  global
        .offset:         96
        .size:           8
        .value_kind:     global_buffer
    .group_segment_fixed_size: 10240
    .kernarg_segment_align: 8
    .kernarg_segment_size: 104
    .language:       OpenCL C
    .language_version:
      - 2
      - 0
    .max_flat_workgroup_size: 128
    .name:           bluestein_single_fwd_len5_dim1_dp_op_CI_CI
    .private_segment_fixed_size: 0
    .sgpr_count:     62
    .sgpr_spill_count: 0
    .symbol:         bluestein_single_fwd_len5_dim1_dp_op_CI_CI.kd
    .uniform_work_group_size: 1
    .uses_dynamic_stack: false
    .vgpr_count:     54
    .vgpr_spill_count: 0
    .wavefront_size: 64
amdhsa.target:   amdgcn-amd-amdhsa--gfx906
amdhsa.version:
  - 1
  - 2
...

	.end_amdgpu_metadata
